;; amdgpu-corpus repo=ROCm/rocFFT kind=compiled arch=gfx950 opt=O3
	.text
	.amdgcn_target "amdgcn-amd-amdhsa--gfx950"
	.amdhsa_code_object_version 6
	.protected	fft_rtc_fwd_len55_factors_5_11_wgs_132_tpt_11_halfLds_dim1_dp_ip_CI_unitstride_sbrr_dirReg ; -- Begin function fft_rtc_fwd_len55_factors_5_11_wgs_132_tpt_11_halfLds_dim1_dp_ip_CI_unitstride_sbrr_dirReg
	.globl	fft_rtc_fwd_len55_factors_5_11_wgs_132_tpt_11_halfLds_dim1_dp_ip_CI_unitstride_sbrr_dirReg
	.p2align	8
	.type	fft_rtc_fwd_len55_factors_5_11_wgs_132_tpt_11_halfLds_dim1_dp_ip_CI_unitstride_sbrr_dirReg,@function
fft_rtc_fwd_len55_factors_5_11_wgs_132_tpt_11_halfLds_dim1_dp_ip_CI_unitstride_sbrr_dirReg: ; @fft_rtc_fwd_len55_factors_5_11_wgs_132_tpt_11_halfLds_dim1_dp_ip_CI_unitstride_sbrr_dirReg
; %bb.0:
	s_load_dwordx4 s[4:7], s[0:1], 0x10
	s_load_dwordx2 s[8:9], s[0:1], 0x48
	v_mul_u32_u24_e32 v1, 0x1746, v0
	v_lshrrev_b32_e32 v2, 16, v1
	v_mad_u64_u32 v[4:5], s[2:3], s2, 12, v[2:3]
	s_waitcnt lgkmcnt(0)
	s_load_dwordx2 s[4:5], s[4:5], 0x8
	v_mul_lo_u16_e32 v1, 11, v2
	v_mov_b32_e32 v5, 0
	v_sub_u16_e32 v36, v0, v1
	v_cmp_gt_u64_e32 vcc, s[6:7], v[4:5]
	s_waitcnt lgkmcnt(0)
	v_mad_u64_u32 v[6:7], s[2:3], s4, v4, 0
	v_mov_b32_e32 v8, v7
	v_mad_u64_u32 v[8:9], s[2:3], s5, v4, v[8:9]
	v_mov_b32_e32 v7, v8
	v_lshl_add_u64 v[44:45], v[6:7], 4, s[8:9]
	v_lshlrev_b32_e32 v46, 4, v36
                                        ; implicit-def: $vgpr34_vgpr35
                                        ; implicit-def: $vgpr30_vgpr31
                                        ; implicit-def: $vgpr26_vgpr27
                                        ; implicit-def: $vgpr22_vgpr23
                                        ; implicit-def: $vgpr2_vgpr3
                                        ; implicit-def: $vgpr0_vgpr1
	s_and_saveexec_b64 s[2:3], vcc
	s_cbranch_execz .LBB0_2
; %bb.1:
	v_mov_b32_e32 v47, v5
	v_lshl_add_u64 v[6:7], v[44:45], 0, v[46:47]
	global_load_dwordx4 v[0:3], v[6:7], off
	global_load_dwordx4 v[20:23], v[6:7], off offset:176
	global_load_dwordx4 v[24:27], v[6:7], off offset:352
	;; [unrolled: 1-line block ×4, first 2 shown]
.LBB0_2:
	s_or_b64 exec, exec, s[2:3]
	s_mov_b32 s2, 0xaaaaaaab
	v_mul_hi_u32 v5, v4, s2
	v_lshrrev_b32_e32 v5, 3, v5
	v_mul_lo_u32 v5, v5, 12
	v_sub_u32_e32 v4, v4, v5
	v_mul_u32_u24_e32 v14, 55, v4
	s_waitcnt vmcnt(3)
	v_add_f64 v[4:5], v[20:21], v[0:1]
	s_waitcnt vmcnt(2)
	v_add_f64 v[4:5], v[24:25], v[4:5]
	s_waitcnt vmcnt(1)
	v_add_f64 v[4:5], v[28:29], v[4:5]
	s_waitcnt vmcnt(0)
	v_add_f64 v[48:49], v[32:33], v[4:5]
	v_add_f64 v[4:5], v[28:29], v[24:25]
	s_mov_b32 s6, 0x134454ff
	v_fma_f64 v[6:7], -0.5, v[4:5], v[0:1]
	v_add_f64 v[4:5], v[22:23], -v[34:35]
	s_mov_b32 s7, 0x3fee6f0e
	s_mov_b32 s4, 0x4755a5e
	;; [unrolled: 1-line block ×4, first 2 shown]
	v_fma_f64 v[52:53], s[6:7], v[4:5], v[6:7]
	v_add_f64 v[8:9], v[26:27], -v[30:31]
	s_mov_b32 s5, 0x3fe2cf23
	v_add_f64 v[10:11], v[20:21], -v[24:25]
	v_add_f64 v[12:13], v[32:33], -v[28:29]
	s_mov_b32 s8, 0x372fe950
	v_fmac_f64_e32 v[6:7], s[10:11], v[4:5]
	s_mov_b32 s13, 0xbfe2cf23
	s_mov_b32 s12, s4
	v_fmac_f64_e32 v[52:53], s[4:5], v[8:9]
	v_add_f64 v[10:11], v[12:13], v[10:11]
	s_mov_b32 s9, 0x3fd3c6ef
	v_fmac_f64_e32 v[6:7], s[12:13], v[8:9]
	v_fmac_f64_e32 v[52:53], s[8:9], v[10:11]
	;; [unrolled: 1-line block ×3, first 2 shown]
	v_add_f64 v[10:11], v[32:33], v[20:21]
	v_fmac_f64_e32 v[0:1], -0.5, v[10:11]
	v_fma_f64 v[54:55], s[10:11], v[8:9], v[0:1]
	v_add_f64 v[10:11], v[24:25], -v[20:21]
	v_add_f64 v[12:13], v[28:29], -v[32:33]
	v_fmac_f64_e32 v[0:1], s[6:7], v[8:9]
	v_fmac_f64_e32 v[54:55], s[4:5], v[4:5]
	v_add_f64 v[10:11], v[12:13], v[10:11]
	v_fmac_f64_e32 v[0:1], s[12:13], v[4:5]
	v_mad_u32_u24 v4, v36, 40, 0
	v_fmac_f64_e32 v[54:55], s[8:9], v[10:11]
	v_fmac_f64_e32 v[0:1], s[8:9], v[10:11]
	v_lshl_add_u32 v39, v14, 3, v4
	v_cmp_gt_u16_e64 s[2:3], 5, v36
	v_lshlrev_b32_e32 v37, 3, v14
	v_lshlrev_b32_e32 v38, 3, v36
	ds_write2_b64 v39, v[48:49], v[52:53] offset1:1
	ds_write2_b64 v39, v[54:55], v[0:1] offset0:2 offset1:3
	ds_write_b64 v39, v[6:7] offset:32
	s_waitcnt lgkmcnt(0)
	s_barrier
	s_waitcnt lgkmcnt(0)
                                        ; implicit-def: $vgpr10_vgpr11
                                        ; implicit-def: $vgpr14_vgpr15
                                        ; implicit-def: $vgpr18_vgpr19
	s_and_saveexec_b64 s[14:15], s[2:3]
	s_cbranch_execz .LBB0_4
; %bb.3:
	v_add3_u32 v0, 0, v37, v38
	ds_read_b64 v[48:49], v0
	v_lshlrev_b32_e32 v0, 5, v36
	v_sub_u32_e32 v0, v4, v0
	v_add_u32_e32 v0, v0, v37
	ds_read2_b64 v[40:43], v0 offset0:5 offset1:10
	ds_read2_b64 v[4:7], v0 offset0:15 offset1:20
	;; [unrolled: 1-line block ×5, first 2 shown]
	s_waitcnt lgkmcnt(4)
	v_mov_b64_e32 v[54:55], v[42:43]
	s_waitcnt lgkmcnt(3)
	v_mov_b64_e32 v[0:1], v[4:5]
	v_mov_b64_e32 v[52:53], v[40:41]
.LBB0_4:
	s_or_b64 exec, exec, s[14:15]
	v_add_f64 v[4:5], v[22:23], v[2:3]
	v_add_f64 v[4:5], v[26:27], v[4:5]
	;; [unrolled: 1-line block ×5, first 2 shown]
	v_fma_f64 v[4:5], -0.5, v[4:5], v[2:3]
	v_add_f64 v[20:21], v[20:21], -v[32:33]
	v_fma_f64 v[62:63], s[10:11], v[20:21], v[4:5]
	v_add_f64 v[24:25], v[24:25], -v[28:29]
	v_add_f64 v[28:29], v[22:23], -v[26:27]
	;; [unrolled: 1-line block ×3, first 2 shown]
	v_fmac_f64_e32 v[4:5], s[6:7], v[20:21]
	v_fmac_f64_e32 v[62:63], s[12:13], v[24:25]
	v_add_f64 v[28:29], v[32:33], v[28:29]
	v_fmac_f64_e32 v[4:5], s[4:5], v[24:25]
	v_fmac_f64_e32 v[62:63], s[8:9], v[28:29]
	;; [unrolled: 1-line block ×3, first 2 shown]
	v_add_f64 v[28:29], v[34:35], v[22:23]
	v_fmac_f64_e32 v[2:3], -0.5, v[28:29]
	v_fma_f64 v[66:67], s[6:7], v[24:25], v[2:3]
	v_add_f64 v[22:23], v[26:27], -v[22:23]
	v_add_f64 v[26:27], v[30:31], -v[34:35]
	v_fmac_f64_e32 v[2:3], s[10:11], v[24:25]
	v_fmac_f64_e32 v[66:67], s[12:13], v[20:21]
	v_add_f64 v[22:23], v[26:27], v[22:23]
	v_fmac_f64_e32 v[2:3], s[4:5], v[20:21]
	v_fmac_f64_e32 v[66:67], s[8:9], v[22:23]
	;; [unrolled: 1-line block ×3, first 2 shown]
	s_waitcnt lgkmcnt(0)
	s_barrier
	ds_write2_b64 v39, v[50:51], v[62:63] offset1:1
	ds_write2_b64 v39, v[66:67], v[2:3] offset0:2 offset1:3
	ds_write_b64 v39, v[4:5] offset:32
	s_waitcnt lgkmcnt(0)
	s_barrier
	s_waitcnt lgkmcnt(0)
                                        ; implicit-def: $vgpr22_vgpr23
                                        ; implicit-def: $vgpr26_vgpr27
                                        ; implicit-def: $vgpr30_vgpr31
	s_and_saveexec_b64 s[4:5], s[2:3]
	s_cbranch_execnz .LBB0_7
; %bb.5:
	s_or_b64 exec, exec, s[4:5]
	s_and_b64 s[2:3], vcc, s[2:3]
	s_and_saveexec_b64 s[4:5], s[2:3]
	s_cbranch_execnz .LBB0_8
.LBB0_6:
	s_endpgm
.LBB0_7:
	v_add3_u32 v2, 0, v37, v38
	ds_read_b64 v[50:51], v2
	v_add3_u32 v20, 0, v38, v37
	ds_read2_b64 v[32:35], v20 offset0:5 offset1:10
	ds_read2_b64 v[2:5], v20 offset0:15 offset1:20
	;; [unrolled: 1-line block ×5, first 2 shown]
	s_waitcnt lgkmcnt(4)
	v_mov_b64_e32 v[66:67], v[34:35]
	v_mov_b64_e32 v[62:63], v[32:33]
	s_or_b64 exec, exec, s[4:5]
	s_and_b64 s[2:3], vcc, s[2:3]
	s_and_saveexec_b64 s[4:5], s[2:3]
	s_cbranch_execz .LBB0_6
.LBB0_8:
	s_movk_i32 s2, 0xcd
	v_mul_lo_u16_sdwa v32, v36, s2 dst_sel:DWORD dst_unused:UNUSED_PAD src0_sel:BYTE_0 src1_sel:DWORD
	v_lshrrev_b16_e32 v32, 10, v32
	s_load_dwordx2 s[0:1], s[0:1], 0x0
	v_mul_lo_u16_e32 v32, 5, v32
	v_sub_u16_e32 v32, v36, v32
	v_mul_lo_u16_e32 v32, 10, v32
	v_and_b32_e32 v32, 0xfe, v32
	v_lshlrev_b32_e32 v47, 4, v32
	s_waitcnt lgkmcnt(0)
	global_load_dwordx4 v[32:35], v47, s[0:1] offset:64
	global_load_dwordx4 v[36:39], v47, s[0:1] offset:80
	;; [unrolled: 1-line block ×7, first 2 shown]
	global_load_dwordx4 v[84:87], v47, s[0:1]
	global_load_dwordx4 v[88:91], v47, s[0:1] offset:128
	global_load_dwordx4 v[92:95], v47, s[0:1] offset:144
	s_mov_b32 s2, 0x9bcd5057
	s_mov_b32 s0, 0x8764f0ba
	;; [unrolled: 1-line block ×30, first 2 shown]
	v_mov_b32_e32 v47, 0
	s_waitcnt vmcnt(9)
	v_mul_f64 v[56:57], v[28:29], v[32:33]
	v_mul_f64 v[96:97], v[28:29], v[34:35]
	s_waitcnt vmcnt(7)
	v_mul_f64 v[58:59], v[4:5], v[40:41]
	v_mul_f64 v[28:29], v[30:31], v[36:37]
	;; [unrolled: 1-line block ×4, first 2 shown]
	s_waitcnt vmcnt(3)
	v_mul_f64 v[64:65], v[66:67], v[80:81]
	v_mul_f64 v[104:105], v[66:67], v[82:83]
	s_waitcnt vmcnt(2)
	v_mul_f64 v[66:67], v[62:63], v[84:85]
	v_mul_f64 v[106:107], v[62:63], v[86:87]
	;; [unrolled: 3-line block ×4, first 2 shown]
	v_fmac_f64_e32 v[66:67], v[52:53], v[86:87]
	v_fmac_f64_e32 v[20:21], v[10:11], v[94:95]
	v_mul_f64 v[30:31], v[24:25], v[68:69]
	v_mul_f64 v[100:101], v[24:25], v[70:71]
	;; [unrolled: 1-line block ×4, first 2 shown]
	v_fmac_f64_e32 v[58:59], v[6:7], v[42:43]
	v_fmac_f64_e32 v[64:65], v[54:55], v[82:83]
	v_fma_f64 v[52:53], v[52:53], v[84:85], -v[106:107]
	v_fmac_f64_e32 v[62:63], v[8:9], v[90:91]
	v_fma_f64 v[42:43], v[10:11], v[92:93], -v[110:111]
	v_add_f64 v[90:91], v[66:67], v[20:21]
	v_mul_f64 v[102:103], v[26:27], v[74:75]
	v_mul_f64 v[2:3], v[2:3], v[78:79]
	v_fmac_f64_e32 v[28:29], v[18:19], v[38:39]
	v_fma_f64 v[26:27], v[18:19], v[36:37], -v[98:99]
	v_fma_f64 v[36:37], v[6:7], v[40:41], -v[4:5]
	v_fmac_f64_e32 v[30:31], v[12:13], v[70:71]
	v_fmac_f64_e32 v[24:25], v[14:15], v[74:75]
	;; [unrolled: 1-line block ×3, first 2 shown]
	v_fma_f64 v[54:55], v[54:55], v[80:81], -v[104:105]
	v_fma_f64 v[38:39], v[8:9], v[88:89], -v[108:109]
	v_add_f64 v[88:89], v[64:65], v[62:63]
	v_add_f64 v[70:71], v[52:53], -v[42:43]
	v_mul_f64 v[4:5], v[90:91], s[2:3]
	v_fmac_f64_e32 v[56:57], v[16:17], v[34:35]
	v_fma_f64 v[22:23], v[16:17], v[32:33], -v[96:97]
	v_fma_f64 v[32:33], v[12:13], v[68:69], -v[100:101]
	;; [unrolled: 1-line block ×4, first 2 shown]
	v_add_f64 v[68:69], v[54:55], -v[38:39]
	v_add_f64 v[86:87], v[60:61], v[24:25]
	v_mul_f64 v[6:7], v[88:89], s[0:1]
	v_fma_f64 v[0:1], s[10:11], v[70:71], v[4:5]
	v_add_f64 v[72:73], v[40:41], -v[34:35]
	v_add_f64 v[84:85], v[58:59], v[30:31]
	v_mul_f64 v[8:9], v[86:87], s[6:7]
	v_fma_f64 v[2:3], s[4:5], v[68:69], v[6:7]
	v_add_f64 v[0:1], v[50:51], v[0:1]
	v_add_f64 v[74:75], v[36:37], -v[32:33]
	v_mul_f64 v[10:11], v[84:85], s[8:9]
	v_fma_f64 v[12:13], s[14:15], v[72:73], v[8:9]
	v_add_f64 v[0:1], v[2:3], v[0:1]
	v_add_f64 v[94:95], v[66:67], -v[20:21]
	v_fma_f64 v[14:15], s[12:13], v[74:75], v[10:11]
	v_add_f64 v[0:1], v[12:13], v[0:1]
	v_add_f64 v[76:77], v[52:53], v[42:43]
	v_mul_f64 v[12:13], v[94:95], s[18:19]
	v_add_f64 v[100:101], v[64:65], -v[62:63]
	v_add_f64 v[0:1], v[14:15], v[0:1]
	v_fma_f64 v[2:3], s[2:3], v[76:77], v[12:13]
	v_add_f64 v[78:79], v[54:55], v[38:39]
	v_mul_f64 v[14:15], v[100:101], s[16:17]
	v_fmac_f64_e32 v[4:5], s[18:19], v[70:71]
	v_add_f64 v[2:3], v[48:49], v[2:3]
	v_fma_f64 v[16:17], s[0:1], v[78:79], v[14:15]
	v_add_f64 v[98:99], v[60:61], -v[24:25]
	v_fmac_f64_e32 v[6:7], s[16:17], v[68:69]
	v_add_f64 v[4:5], v[50:51], v[4:5]
	v_add_f64 v[2:3], v[16:17], v[2:3]
	v_add_f64 v[80:81], v[40:41], v[34:35]
	v_mul_f64 v[16:17], v[98:99], s[22:23]
	v_add_f64 v[4:5], v[6:7], v[4:5]
	v_fmac_f64_e32 v[8:9], s[22:23], v[72:73]
	v_fma_f64 v[18:19], s[6:7], v[80:81], v[16:17]
	v_add_f64 v[102:103], v[58:59], -v[30:31]
	v_add_f64 v[4:5], v[8:9], v[4:5]
	v_fma_f64 v[8:9], v[76:77], s[2:3], -v[12:13]
	v_add_f64 v[2:3], v[18:19], v[2:3]
	v_add_f64 v[82:83], v[36:37], v[32:33]
	v_mul_f64 v[18:19], v[102:103], s[26:27]
	v_add_f64 v[104:105], v[56:57], v[28:29]
	v_fma_f64 v[6:7], v[78:79], s[0:1], -v[14:15]
	v_add_f64 v[8:9], v[48:49], v[8:9]
	v_fma_f64 v[92:93], s[8:9], v[82:83], v[18:19]
	v_mul_f64 v[110:111], v[104:105], s[20:21]
	v_add_f64 v[96:97], v[22:23], -v[26:27]
	v_add_f64 v[106:107], v[56:57], -v[28:29]
	v_fmac_f64_e32 v[10:11], s[26:27], v[74:75]
	v_add_f64 v[6:7], v[6:7], v[8:9]
	v_fma_f64 v[8:9], v[80:81], s[6:7], -v[16:17]
	v_add_f64 v[108:109], v[92:93], v[2:3]
	v_fma_f64 v[2:3], s[28:29], v[96:97], v[110:111]
	v_add_f64 v[92:93], v[22:23], v[26:27]
	v_mul_f64 v[112:113], v[106:107], s[24:25]
	v_add_f64 v[4:5], v[10:11], v[4:5]
	v_add_f64 v[6:7], v[8:9], v[6:7]
	v_fma_f64 v[8:9], v[82:83], s[8:9], -v[18:19]
	v_fmac_f64_e32 v[110:111], s[24:25], v[96:97]
	v_add_f64 v[8:9], v[8:9], v[6:7]
	v_add_f64 v[6:7], v[110:111], v[4:5]
	v_fma_f64 v[4:5], v[92:93], s[20:21], -v[112:113]
	v_mul_f64 v[12:13], v[90:91], s[6:7]
	v_add_f64 v[4:5], v[4:5], v[8:9]
	v_fma_f64 v[8:9], s[14:15], v[70:71], v[12:13]
	v_mul_f64 v[14:15], v[88:89], s[20:21]
	v_add_f64 v[8:9], v[50:51], v[8:9]
	v_fma_f64 v[10:11], s[24:25], v[68:69], v[14:15]
	v_mul_f64 v[16:17], v[86:87], s[0:1]
	v_add_f64 v[2:3], v[2:3], v[0:1]
	v_fma_f64 v[0:1], s[20:21], v[92:93], v[112:113]
	v_add_f64 v[8:9], v[10:11], v[8:9]
	v_fma_f64 v[10:11], s[16:17], v[72:73], v[16:17]
	v_mul_f64 v[18:19], v[84:85], s[2:3]
	v_add_f64 v[0:1], v[0:1], v[108:109]
	v_add_f64 v[8:9], v[10:11], v[8:9]
	v_fma_f64 v[10:11], s[10:11], v[74:75], v[18:19]
	v_mul_f64 v[108:109], v[94:95], s[22:23]
	v_add_f64 v[8:9], v[10:11], v[8:9]
	v_fma_f64 v[10:11], s[6:7], v[76:77], v[108:109]
	v_mul_f64 v[110:111], v[100:101], s[28:29]
	v_fmac_f64_e32 v[12:13], s[22:23], v[70:71]
	v_add_f64 v[10:11], v[48:49], v[10:11]
	v_fma_f64 v[112:113], s[20:21], v[78:79], v[110:111]
	v_fmac_f64_e32 v[14:15], s[28:29], v[68:69]
	v_add_f64 v[12:13], v[50:51], v[12:13]
	v_add_f64 v[10:11], v[112:113], v[10:11]
	v_mul_f64 v[112:113], v[98:99], s[4:5]
	v_add_f64 v[12:13], v[14:15], v[12:13]
	v_fmac_f64_e32 v[16:17], s[4:5], v[72:73]
	v_fma_f64 v[114:115], s[0:1], v[80:81], v[112:113]
	v_add_f64 v[12:13], v[16:17], v[12:13]
	v_fma_f64 v[16:17], v[76:77], s[6:7], -v[108:109]
	v_add_f64 v[10:11], v[114:115], v[10:11]
	v_mul_f64 v[114:115], v[102:103], s[18:19]
	v_fma_f64 v[14:15], v[78:79], s[20:21], -v[110:111]
	v_add_f64 v[16:17], v[48:49], v[16:17]
	v_fma_f64 v[116:117], s[2:3], v[82:83], v[114:115]
	v_mul_f64 v[118:119], v[104:105], s[8:9]
	v_fmac_f64_e32 v[18:19], s[18:19], v[74:75]
	v_add_f64 v[14:15], v[14:15], v[16:17]
	v_fma_f64 v[16:17], v[80:81], s[0:1], -v[112:113]
	v_add_f64 v[116:117], v[116:117], v[10:11]
	v_fma_f64 v[10:11], s[12:13], v[96:97], v[118:119]
	v_mul_f64 v[120:121], v[106:107], s[26:27]
	v_add_f64 v[12:13], v[18:19], v[12:13]
	v_add_f64 v[14:15], v[16:17], v[14:15]
	v_fma_f64 v[16:17], v[82:83], s[2:3], -v[114:115]
	v_fmac_f64_e32 v[118:119], s[26:27], v[96:97]
	v_add_f64 v[16:17], v[16:17], v[14:15]
	v_add_f64 v[14:15], v[118:119], v[12:13]
	v_fma_f64 v[12:13], v[92:93], s[8:9], -v[120:121]
	v_mul_f64 v[108:109], v[90:91], s[20:21]
	v_add_f64 v[12:13], v[12:13], v[16:17]
	v_fma_f64 v[16:17], s[28:29], v[70:71], v[108:109]
	v_mul_f64 v[110:111], v[88:89], s[2:3]
	v_add_f64 v[16:17], v[50:51], v[16:17]
	v_fma_f64 v[18:19], s[18:19], v[68:69], v[110:111]
	v_mul_f64 v[112:113], v[86:87], s[8:9]
	v_add_f64 v[10:11], v[10:11], v[8:9]
	v_fma_f64 v[8:9], s[8:9], v[92:93], v[120:121]
	v_add_f64 v[16:17], v[18:19], v[16:17]
	v_fma_f64 v[18:19], s[12:13], v[72:73], v[112:113]
	v_mul_f64 v[114:115], v[84:85], s[0:1]
	v_add_f64 v[8:9], v[8:9], v[116:117]
	v_add_f64 v[16:17], v[18:19], v[16:17]
	v_fma_f64 v[18:19], s[16:17], v[74:75], v[114:115]
	v_mul_f64 v[116:117], v[94:95], s[24:25]
	v_add_f64 v[16:17], v[18:19], v[16:17]
	v_fma_f64 v[18:19], s[20:21], v[76:77], v[116:117]
	v_mul_f64 v[118:119], v[100:101], s[10:11]
	v_fmac_f64_e32 v[108:109], s[24:25], v[70:71]
	v_add_f64 v[18:19], v[48:49], v[18:19]
	v_fma_f64 v[120:121], s[2:3], v[78:79], v[118:119]
	v_fmac_f64_e32 v[110:111], s[10:11], v[68:69]
	v_add_f64 v[108:109], v[50:51], v[108:109]
	v_add_f64 v[18:19], v[120:121], v[18:19]
	v_mul_f64 v[120:121], v[98:99], s[26:27]
	v_add_f64 v[108:109], v[110:111], v[108:109]
	v_fmac_f64_e32 v[112:113], s[26:27], v[72:73]
	v_fma_f64 v[122:123], s[8:9], v[80:81], v[120:121]
	v_add_f64 v[108:109], v[112:113], v[108:109]
	v_fma_f64 v[112:113], v[76:77], s[20:21], -v[116:117]
	v_add_f64 v[18:19], v[122:123], v[18:19]
	v_mul_f64 v[122:123], v[102:103], s[4:5]
	v_fma_f64 v[110:111], v[78:79], s[2:3], -v[118:119]
	v_add_f64 v[112:113], v[48:49], v[112:113]
	v_fma_f64 v[124:125], s[0:1], v[82:83], v[122:123]
	v_mul_f64 v[126:127], v[104:105], s[6:7]
	v_fmac_f64_e32 v[114:115], s[4:5], v[74:75]
	v_add_f64 v[110:111], v[110:111], v[112:113]
	v_fma_f64 v[112:113], v[80:81], s[8:9], -v[120:121]
	v_add_f64 v[124:125], v[124:125], v[18:19]
	v_fma_f64 v[18:19], s[14:15], v[96:97], v[126:127]
	;; [unrolled: 50-line block ×3, first 2 shown]
	v_mul_f64 v[136:137], v[106:107], s[16:17]
	v_add_f64 v[116:117], v[122:123], v[116:117]
	v_add_f64 v[118:119], v[120:121], v[118:119]
	v_fma_f64 v[120:121], v[82:83], s[20:21], -v[130:131]
	v_fmac_f64_e32 v[134:135], s[16:17], v[96:97]
	v_add_f64 v[120:121], v[120:121], v[118:119]
	v_add_f64 v[118:119], v[134:135], v[116:117]
	v_fma_f64 v[116:117], v[92:93], s[0:1], -v[136:137]
	v_mul_f64 v[90:91], v[90:91], s[0:1]
	v_add_f64 v[116:117], v[116:117], v[120:121]
	v_mul_f64 v[88:89], v[88:89], s[8:9]
	v_fma_f64 v[120:121], s[16:17], v[70:71], v[90:91]
	v_fmac_f64_e32 v[90:91], s[4:5], v[70:71]
	v_add_f64 v[120:121], v[50:51], v[120:121]
	v_fma_f64 v[122:123], s[26:27], v[68:69], v[88:89]
	v_fmac_f64_e32 v[88:89], s[12:13], v[68:69]
	v_add_f64 v[68:69], v[50:51], v[90:91]
	v_add_f64 v[50:51], v[50:51], v[66:67]
	;; [unrolled: 1-line block ×9, first 2 shown]
	v_mul_f64 v[122:123], v[86:87], s[20:21]
	v_add_f64 v[24:25], v[24:25], v[28:29]
	v_add_f64 v[28:29], v[48:49], v[52:53]
	v_fma_f64 v[86:87], s[28:29], v[72:73], v[122:123]
	v_add_f64 v[28:29], v[54:55], v[28:29]
	v_add_f64 v[86:87], v[86:87], v[120:121]
	v_mul_f64 v[120:121], v[84:85], s[6:7]
	v_add_f64 v[28:29], v[40:41], v[28:29]
	v_fma_f64 v[84:85], s[14:15], v[74:75], v[120:121]
	v_mul_f64 v[94:95], v[94:95], s[4:5]
	v_add_f64 v[28:29], v[36:37], v[28:29]
	v_add_f64 v[84:85], v[84:85], v[86:87]
	v_mul_f64 v[100:101], v[100:101], s[12:13]
	v_fma_f64 v[86:87], s[0:1], v[76:77], v[94:95]
	v_add_f64 v[24:25], v[62:63], v[24:25]
	v_add_f64 v[28:29], v[22:23], v[28:29]
	;; [unrolled: 1-line block ×3, first 2 shown]
	v_fma_f64 v[124:125], s[8:9], v[78:79], v[100:101]
	v_mul_f64 v[98:99], v[98:99], s[24:25]
	v_fma_f64 v[76:77], v[76:77], s[0:1], -v[94:95]
	v_add_f64 v[22:23], v[20:21], v[24:25]
	v_add_f64 v[20:21], v[26:27], v[28:29]
	;; [unrolled: 1-line block ×3, first 2 shown]
	v_fma_f64 v[124:125], s[20:21], v[80:81], v[98:99]
	v_mul_f64 v[102:103], v[102:103], s[22:23]
	v_fma_f64 v[78:79], v[78:79], s[8:9], -v[100:101]
	v_add_f64 v[76:77], v[48:49], v[76:77]
	v_add_f64 v[20:21], v[32:33], v[20:21]
	;; [unrolled: 1-line block ×3, first 2 shown]
	v_fma_f64 v[124:125], s[6:7], v[82:83], v[102:103]
	v_mul_f64 v[104:105], v[104:105], s[2:3]
	v_fmac_f64_e32 v[120:121], s[22:23], v[74:75]
	v_fmac_f64_e32 v[122:123], s[24:25], v[72:73]
	v_add_f64 v[68:69], v[88:89], v[68:69]
	v_fma_f64 v[74:75], v[80:81], s[20:21], -v[98:99]
	v_add_f64 v[76:77], v[78:79], v[76:77]
	v_add_f64 v[20:21], v[34:35], v[20:21]
	;; [unrolled: 1-line block ×3, first 2 shown]
	v_fma_f64 v[86:87], s[10:11], v[96:97], v[104:105]
	v_mul_f64 v[106:107], v[106:107], s[18:19]
	v_add_f64 v[68:69], v[122:123], v[68:69]
	v_fma_f64 v[70:71], v[82:83], s[6:7], -v[102:103]
	v_add_f64 v[74:75], v[74:75], v[76:77]
	v_add_f64 v[20:21], v[38:39], v[20:21]
	;; [unrolled: 1-line block ×3, first 2 shown]
	v_fma_f64 v[112:113], s[0:1], v[92:93], v[136:137]
	v_add_f64 v[86:87], v[86:87], v[84:85]
	v_fma_f64 v[84:85], s[2:3], v[92:93], v[106:107]
	v_fmac_f64_e32 v[104:105], s[18:19], v[96:97]
	v_add_f64 v[68:69], v[120:121], v[68:69]
	v_fma_f64 v[72:73], v[92:93], s[2:3], -v[106:107]
	v_add_f64 v[74:75], v[70:71], v[74:75]
	v_add_f64 v[20:21], v[42:43], v[20:21]
	v_lshl_add_u64 v[24:25], v[44:45], 0, v[46:47]
	v_add_f64 v[112:113], v[112:113], v[132:133]
	v_add_f64 v[84:85], v[84:85], v[124:125]
	;; [unrolled: 1-line block ×4, first 2 shown]
	global_store_dwordx4 v[24:25], v[20:23], off
	global_store_dwordx4 v[24:25], v[68:71], off offset:80
	global_store_dwordx4 v[24:25], v[116:119], off offset:160
	;; [unrolled: 1-line block ×10, first 2 shown]
	s_endpgm
	.section	.rodata,"a",@progbits
	.p2align	6, 0x0
	.amdhsa_kernel fft_rtc_fwd_len55_factors_5_11_wgs_132_tpt_11_halfLds_dim1_dp_ip_CI_unitstride_sbrr_dirReg
		.amdhsa_group_segment_fixed_size 0
		.amdhsa_private_segment_fixed_size 0
		.amdhsa_kernarg_size 80
		.amdhsa_user_sgpr_count 2
		.amdhsa_user_sgpr_dispatch_ptr 0
		.amdhsa_user_sgpr_queue_ptr 0
		.amdhsa_user_sgpr_kernarg_segment_ptr 1
		.amdhsa_user_sgpr_dispatch_id 0
		.amdhsa_user_sgpr_kernarg_preload_length 0
		.amdhsa_user_sgpr_kernarg_preload_offset 0
		.amdhsa_user_sgpr_private_segment_size 0
		.amdhsa_uses_dynamic_stack 0
		.amdhsa_enable_private_segment 0
		.amdhsa_system_sgpr_workgroup_id_x 1
		.amdhsa_system_sgpr_workgroup_id_y 0
		.amdhsa_system_sgpr_workgroup_id_z 0
		.amdhsa_system_sgpr_workgroup_info 0
		.amdhsa_system_vgpr_workitem_id 0
		.amdhsa_next_free_vgpr 138
		.amdhsa_next_free_sgpr 30
		.amdhsa_accum_offset 140
		.amdhsa_reserve_vcc 1
		.amdhsa_float_round_mode_32 0
		.amdhsa_float_round_mode_16_64 0
		.amdhsa_float_denorm_mode_32 3
		.amdhsa_float_denorm_mode_16_64 3
		.amdhsa_dx10_clamp 1
		.amdhsa_ieee_mode 1
		.amdhsa_fp16_overflow 0
		.amdhsa_tg_split 0
		.amdhsa_exception_fp_ieee_invalid_op 0
		.amdhsa_exception_fp_denorm_src 0
		.amdhsa_exception_fp_ieee_div_zero 0
		.amdhsa_exception_fp_ieee_overflow 0
		.amdhsa_exception_fp_ieee_underflow 0
		.amdhsa_exception_fp_ieee_inexact 0
		.amdhsa_exception_int_div_zero 0
	.end_amdhsa_kernel
	.text
.Lfunc_end0:
	.size	fft_rtc_fwd_len55_factors_5_11_wgs_132_tpt_11_halfLds_dim1_dp_ip_CI_unitstride_sbrr_dirReg, .Lfunc_end0-fft_rtc_fwd_len55_factors_5_11_wgs_132_tpt_11_halfLds_dim1_dp_ip_CI_unitstride_sbrr_dirReg
                                        ; -- End function
	.section	.AMDGPU.csdata,"",@progbits
; Kernel info:
; codeLenInByte = 3964
; NumSgprs: 36
; NumVgprs: 138
; NumAgprs: 0
; TotalNumVgprs: 138
; ScratchSize: 0
; MemoryBound: 1
; FloatMode: 240
; IeeeMode: 1
; LDSByteSize: 0 bytes/workgroup (compile time only)
; SGPRBlocks: 4
; VGPRBlocks: 17
; NumSGPRsForWavesPerEU: 36
; NumVGPRsForWavesPerEU: 138
; AccumOffset: 140
; Occupancy: 3
; WaveLimiterHint : 1
; COMPUTE_PGM_RSRC2:SCRATCH_EN: 0
; COMPUTE_PGM_RSRC2:USER_SGPR: 2
; COMPUTE_PGM_RSRC2:TRAP_HANDLER: 0
; COMPUTE_PGM_RSRC2:TGID_X_EN: 1
; COMPUTE_PGM_RSRC2:TGID_Y_EN: 0
; COMPUTE_PGM_RSRC2:TGID_Z_EN: 0
; COMPUTE_PGM_RSRC2:TIDIG_COMP_CNT: 0
; COMPUTE_PGM_RSRC3_GFX90A:ACCUM_OFFSET: 34
; COMPUTE_PGM_RSRC3_GFX90A:TG_SPLIT: 0
	.text
	.p2alignl 6, 3212836864
	.fill 256, 4, 3212836864
	.type	__hip_cuid_938593d3f2661b50,@object ; @__hip_cuid_938593d3f2661b50
	.section	.bss,"aw",@nobits
	.globl	__hip_cuid_938593d3f2661b50
__hip_cuid_938593d3f2661b50:
	.byte	0                               ; 0x0
	.size	__hip_cuid_938593d3f2661b50, 1

	.ident	"AMD clang version 19.0.0git (https://github.com/RadeonOpenCompute/llvm-project roc-6.4.0 25133 c7fe45cf4b819c5991fe208aaa96edf142730f1d)"
	.section	".note.GNU-stack","",@progbits
	.addrsig
	.addrsig_sym __hip_cuid_938593d3f2661b50
	.amdgpu_metadata
---
amdhsa.kernels:
  - .agpr_count:     0
    .args:
      - .actual_access:  read_only
        .address_space:  global
        .offset:         0
        .size:           8
        .value_kind:     global_buffer
      - .actual_access:  read_only
        .address_space:  global
        .offset:         8
        .size:           8
        .value_kind:     global_buffer
      - .actual_access:  read_only
        .address_space:  global
        .offset:         16
        .size:           8
        .value_kind:     global_buffer
      - .offset:         24
        .size:           8
        .value_kind:     by_value
      - .actual_access:  read_only
        .address_space:  global
        .offset:         32
        .size:           8
        .value_kind:     global_buffer
      - .actual_access:  read_only
        .address_space:  global
        .offset:         40
        .size:           8
        .value_kind:     global_buffer
      - .offset:         48
        .size:           4
        .value_kind:     by_value
      - .actual_access:  read_only
        .address_space:  global
        .offset:         56
        .size:           8
        .value_kind:     global_buffer
      - .actual_access:  read_only
        .address_space:  global
        .offset:         64
        .size:           8
        .value_kind:     global_buffer
      - .address_space:  global
        .offset:         72
        .size:           8
        .value_kind:     global_buffer
    .group_segment_fixed_size: 0
    .kernarg_segment_align: 8
    .kernarg_segment_size: 80
    .language:       OpenCL C
    .language_version:
      - 2
      - 0
    .max_flat_workgroup_size: 132
    .name:           fft_rtc_fwd_len55_factors_5_11_wgs_132_tpt_11_halfLds_dim1_dp_ip_CI_unitstride_sbrr_dirReg
    .private_segment_fixed_size: 0
    .sgpr_count:     36
    .sgpr_spill_count: 0
    .symbol:         fft_rtc_fwd_len55_factors_5_11_wgs_132_tpt_11_halfLds_dim1_dp_ip_CI_unitstride_sbrr_dirReg.kd
    .uniform_work_group_size: 1
    .uses_dynamic_stack: false
    .vgpr_count:     138
    .vgpr_spill_count: 0
    .wavefront_size: 64
amdhsa.target:   amdgcn-amd-amdhsa--gfx950
amdhsa.version:
  - 1
  - 2
...

	.end_amdgpu_metadata
